;; amdgpu-corpus repo=llvm/llvm-project kind=harvested arch=n/a opt=n/a
// NOTE: Assertions have been autogenerated by utils/update_mc_test_checks.py UTC_ARGS: --version 5
// RUN: llvm-mc -triple=amdgcn -show-encoding -mcpu=gfx1310 %s | FileCheck --check-prefix=GFX13 %s
// RUN: llvm-mc -triple=amdgcn -show-encoding -mcpu=gfx1310 %s | %extract-encodings | llvm-mc -triple=amdgcn -show-encoding -mcpu=gfx1310 --disassemble | FileCheck --check-prefix=GFX13 %s

v_ceil_f64 v[254:255], 0x10abcdef12345678
// GFX13: v_ceil_f64_e32 v[254:255], 0x10abcdef12345678 ; encoding: [0xfe,0x30,0xfc,0x7f,0x78,0x56,0x34,0x12,0xef,0xcd,0xab,0x10]

v_cvt_f32_f64 v255, 0x10abcdef12345678
// GFX13: v_cvt_f32_f64_e32 v255, 0x10abcdef12345678 ; encoding: [0xfe,0x1e,0xfe,0x7f,0x78,0x56,0x34,0x12,0xef,0xcd,0xab,0x10]

v_cvt_i32_f64 v255, 0x10abcdef12345678
// GFX13: v_cvt_i32_f64_e32 v255, 0x10abcdef12345678 ; encoding: [0xfe,0x06,0xfe,0x7f,0x78,0x56,0x34,0x12,0xef,0xcd,0xab,0x10]

v_cvt_u32_f64 v255, 0x10abcdef12345678
// GFX13: v_cvt_u32_f64_e32 v255, 0x10abcdef12345678 ; encoding: [0xfe,0x2a,0xfe,0x7f,0x78,0x56,0x34,0x12,0xef,0xcd,0xab,0x10]

v_floor_f64 v[254:255], 0x10abcdef12345678
// GFX13: v_floor_f64_e32 v[254:255], 0x10abcdef12345678 ; encoding: [0xfe,0x34,0xfc,0x7f,0x78,0x56,0x34,0x12,0xef,0xcd,0xab,0x10]

v_fract_f64 v[254:255], 0x10abcdef12345678
// GFX13: v_fract_f64_e32 v[254:255], 0x10abcdef12345678 ; encoding: [0xfe,0x7c,0xfc,0x7f,0x78,0x56,0x34,0x12,0xef,0xcd,0xab,0x10]

v_frexp_exp_i32_f64 v255, 0x10abcdef12345678
// GFX13: v_frexp_exp_i32_f64_e32 v255, 0x10abcdef12345678 ; encoding: [0xfe,0x78,0xfe,0x7f,0x78,0x56,0x34,0x12,0xef,0xcd,0xab,0x10]

v_frexp_mant_f64 v[254:255], 0x10abcdef12345678
// GFX13: v_frexp_mant_f64_e32 v[254:255], 0x10abcdef12345678 ; encoding: [0xfe,0x7a,0xfc,0x7f,0x78,0x56,0x34,0x12,0xef,0xcd,0xab,0x10]

v_rcp_f64 v[254:255], 0x10abcdef12345678
// GFX13: v_rcp_f64_e32 v[254:255], 0x10abcdef12345678 ; encoding: [0xfe,0x5e,0xfc,0x7f,0x78,0x56,0x34,0x12,0xef,0xcd,0xab,0x10]

v_rndne_f64 v[254:255], 0x10abcdef12345678
// GFX13: v_rndne_f64_e32 v[254:255], 0x10abcdef12345678 ; encoding: [0xfe,0x32,0xfc,0x7f,0x78,0x56,0x34,0x12,0xef,0xcd,0xab,0x10]

v_rsq_f64 v[254:255], 0x10abcdef12345678
// GFX13: v_rsq_f64_e32 v[254:255], 0x10abcdef12345678 ; encoding: [0xfe,0x62,0xfc,0x7f,0x78,0x56,0x34,0x12,0xef,0xcd,0xab,0x10]

v_sqrt_f64 v[254:255], 0x10abcdef12345678
// GFX13: v_sqrt_f64_e32 v[254:255], 0x10abcdef12345678 ; encoding: [0xfe,0x68,0xfc,0x7f,0x78,0x56,0x34,0x12,0xef,0xcd,0xab,0x10]

v_trunc_f64 v[254:255], 0x10abcdef12345678
// GFX13: v_trunc_f64_e32 v[254:255], 0x10abcdef12345678 ; encoding: [0xfe,0x2e,0xfc,0x7f,0x78,0x56,0x34,0x12,0xef,0xcd,0xab,0x10]

v_add_f64 v[254:255], 0x10abcdef12345678, v[254:255]
// GFX13: v_add_f64_e32 v[254:255], 0x10abcdef12345678, v[254:255] ; encoding: [0xfe,0xfc,0xfd,0x05,0x78,0x56,0x34,0x12,0xef,0xcd,0xab,0x10]

v_max_num_f64 v[254:255], 0x10abcdef12345678, v[254:255]
// GFX13: v_max_num_f64_e32 v[254:255], 0x10abcdef12345678, v[254:255] ; encoding: [0xfe,0xfc,0xfd,0x1d,0x78,0x56,0x34,0x12,0xef,0xcd,0xab,0x10]

v_min_num_f64 v[254:255], 0x10abcdef12345678, v[254:255]
// GFX13: v_min_num_f64_e32 v[254:255], 0x10abcdef12345678, v[254:255] ; encoding: [0xfe,0xfc,0xfd,0x1b,0x78,0x56,0x34,0x12,0xef,0xcd,0xab,0x10]

v_mul_f64 v[254:255], 0x10abcdef12345678, v[254:255]
// GFX13: v_mul_f64_e32 v[254:255], 0x10abcdef12345678, v[254:255] ; encoding: [0xfe,0xfc,0xfd,0x0d,0x78,0x56,0x34,0x12,0xef,0xcd,0xab,0x10]

v_cmp_class_f64 vcc_lo, 0x10abcdef12345678, v255
// GFX13: v_cmp_class_f64_e32 vcc_lo, 0x10abcdef12345678, v255 ; encoding: [0xfe,0xfe,0xff,0x7c,0x78,0x56,0x34,0x12,0xef,0xcd,0xab,0x10]

v_cmp_eq_f64 vcc_lo, 0x10abcdef12345678, v[254:255]
// GFX13: v_cmp_eq_f64_e32 vcc_lo, 0x10abcdef12345678, v[254:255] ; encoding: [0xfe,0xfc,0x45,0x7c,0x78,0x56,0x34,0x12,0xef,0xcd,0xab,0x10]

v_cmp_ge_f64 vcc_lo, 0x10abcdef12345678, v[254:255]
// GFX13: v_cmp_ge_f64_e32 vcc_lo, 0x10abcdef12345678, v[254:255] ; encoding: [0xfe,0xfc,0x4d,0x7c,0x78,0x56,0x34,0x12,0xef,0xcd,0xab,0x10]

v_cmp_gt_f64 vcc_lo, 0x10abcdef12345678, v[254:255]
// GFX13: v_cmp_gt_f64_e32 vcc_lo, 0x10abcdef12345678, v[254:255] ; encoding: [0xfe,0xfc,0x49,0x7c,0x78,0x56,0x34,0x12,0xef,0xcd,0xab,0x10]

v_cmp_gt_i64 vcc_lo, 0x10abcdef12345678, v[254:255]
// GFX13: v_cmp_gt_i64_e32 vcc_lo, 0x10abcdef12345678, v[254:255] ; encoding: [0xfe,0xfc,0xa9,0x7c,0x78,0x56,0x34,0x12,0xef,0xcd,0xab,0x10]

v_cmp_gt_u64 vcc_lo, 0x10abcdef12345678, v[254:255]
// GFX13: v_cmp_gt_u64_e32 vcc_lo, 0x10abcdef12345678, v[254:255] ; encoding: [0xfe,0xfc,0xb9,0x7c,0x78,0x56,0x34,0x12,0xef,0xcd,0xab,0x10]

v_cmp_le_f64 vcc_lo, 0x10abcdef12345678, v[254:255]
// GFX13: v_cmp_le_f64_e32 vcc_lo, 0x10abcdef12345678, v[254:255] ; encoding: [0xfe,0xfc,0x47,0x7c,0x78,0x56,0x34,0x12,0xef,0xcd,0xab,0x10]

v_cmp_le_i64 vcc_lo, 0x10abcdef12345678, v[254:255]
// GFX13: v_cmp_le_i64_e32 vcc_lo, 0x10abcdef12345678, v[254:255] ; encoding: [0xfe,0xfc,0xa7,0x7c,0x78,0x56,0x34,0x12,0xef,0xcd,0xab,0x10]

v_cmp_le_u64 vcc_lo, 0x10abcdef12345678, v[254:255]
// GFX13: v_cmp_le_u64_e32 vcc_lo, 0x10abcdef12345678, v[254:255] ; encoding: [0xfe,0xfc,0xb7,0x7c,0x78,0x56,0x34,0x12,0xef,0xcd,0xab,0x10]

v_cmp_lg_f64 vcc_lo, 0x10abcdef12345678, v[254:255]
// GFX13: v_cmp_lg_f64_e32 vcc_lo, 0x10abcdef12345678, v[254:255] ; encoding: [0xfe,0xfc,0x4b,0x7c,0x78,0x56,0x34,0x12,0xef,0xcd,0xab,0x10]

v_cmp_lt_f64 vcc_lo, 0x10abcdef12345678, v[254:255]
// GFX13: v_cmp_lt_f64_e32 vcc_lo, 0x10abcdef12345678, v[254:255] ; encoding: [0xfe,0xfc,0x43,0x7c,0x78,0x56,0x34,0x12,0xef,0xcd,0xab,0x10]

v_cmp_lt_i64 vcc_lo, 0x10abcdef12345678, v[254:255]
// GFX13: v_cmp_lt_i64_e32 vcc_lo, 0x10abcdef12345678, v[254:255] ; encoding: [0xfe,0xfc,0xa3,0x7c,0x78,0x56,0x34,0x12,0xef,0xcd,0xab,0x10]

v_cmp_lt_u64 vcc_lo, 0x10abcdef12345678, v[254:255]
// GFX13: v_cmp_lt_u64_e32 vcc_lo, 0x10abcdef12345678, v[254:255] ; encoding: [0xfe,0xfc,0xb3,0x7c,0x78,0x56,0x34,0x12,0xef,0xcd,0xab,0x10]

v_cmp_ne_i64 vcc_lo, 0x10abcdef12345678, v[254:255]
// GFX13: v_cmp_ne_i64_e32 vcc_lo, 0x10abcdef12345678, v[254:255] ; encoding: [0xfe,0xfc,0xab,0x7c,0x78,0x56,0x34,0x12,0xef,0xcd,0xab,0x10]

v_cmp_ne_u64 vcc_lo, 0x10abcdef12345678, v[254:255]
// GFX13: v_cmp_ne_u64_e32 vcc_lo, 0x10abcdef12345678, v[254:255] ; encoding: [0xfe,0xfc,0xbb,0x7c,0x78,0x56,0x34,0x12,0xef,0xcd,0xab,0x10]

v_cmp_neq_f64 vcc_lo, 0x10abcdef12345678, v[254:255]
// GFX13: v_cmp_neq_f64_e32 vcc_lo, 0x10abcdef12345678, v[254:255] ; encoding: [0xfe,0xfc,0x5b,0x7c,0x78,0x56,0x34,0x12,0xef,0xcd,0xab,0x10]

v_cmp_nge_f64 vcc_lo, 0x10abcdef12345678, v[254:255]
// GFX13: v_cmp_nge_f64_e32 vcc_lo, 0x10abcdef12345678, v[254:255] ; encoding: [0xfe,0xfc,0x53,0x7c,0x78,0x56,0x34,0x12,0xef,0xcd,0xab,0x10]

v_cmp_ngt_f64 vcc_lo, 0x10abcdef12345678, v[254:255]
// GFX13: v_cmp_ngt_f64_e32 vcc_lo, 0x10abcdef12345678, v[254:255] ; encoding: [0xfe,0xfc,0x57,0x7c,0x78,0x56,0x34,0x12,0xef,0xcd,0xab,0x10]

v_cmp_nle_f64 vcc_lo, 0x10abcdef12345678, v[254:255]
// GFX13: v_cmp_nle_f64_e32 vcc_lo, 0x10abcdef12345678, v[254:255] ; encoding: [0xfe,0xfc,0x59,0x7c,0x78,0x56,0x34,0x12,0xef,0xcd,0xab,0x10]

v_cmp_nlg_f64 vcc_lo, 0x10abcdef12345678, v[254:255]
// GFX13: v_cmp_nlg_f64_e32 vcc_lo, 0x10abcdef12345678, v[254:255] ; encoding: [0xfe,0xfc,0x55,0x7c,0x78,0x56,0x34,0x12,0xef,0xcd,0xab,0x10]

v_cmp_nlt_f64 vcc_lo, 0x10abcdef12345678, v[254:255]
// GFX13: v_cmp_nlt_f64_e32 vcc_lo, 0x10abcdef12345678, v[254:255] ; encoding: [0xfe,0xfc,0x5d,0x7c,0x78,0x56,0x34,0x12,0xef,0xcd,0xab,0x10]

v_cmp_o_f64 vcc_lo, 0x10abcdef12345678, v[254:255]
// GFX13: v_cmp_o_f64_e32 vcc_lo, 0x10abcdef12345678, v[254:255] ; encoding: [0xfe,0xfc,0x4f,0x7c,0x78,0x56,0x34,0x12,0xef,0xcd,0xab,0x10]

v_cmp_u_f64 vcc_lo, 0x10abcdef12345678, v[254:255]
// GFX13: v_cmp_u_f64_e32 vcc_lo, 0x10abcdef12345678, v[254:255] ; encoding: [0xfe,0xfc,0x51,0x7c,0x78,0x56,0x34,0x12,0xef,0xcd,0xab,0x10]

v_cmpx_class_f64 0x10abcdef12345678, v255
// GFX13: v_cmpx_class_f64_e32 0x10abcdef12345678, v255 ; encoding: [0xfe,0xfe,0xff,0x7d,0x78,0x56,0x34,0x12,0xef,0xcd,0xab,0x10]

v_cmpx_eq_f64 0x10abcdef12345678, v[254:255]
// GFX13: v_cmpx_eq_f64_e32 0x10abcdef12345678, v[254:255] ; encoding: [0xfe,0xfc,0x45,0x7d,0x78,0x56,0x34,0x12,0xef,0xcd,0xab,0x10]

v_cmpx_eq_i64 0x10abcdef12345678, v[254:255]
// GFX13: v_cmpx_eq_i64_e32 0x10abcdef12345678, v[254:255] ; encoding: [0xfe,0xfc,0xa5,0x7d,0x78,0x56,0x34,0x12,0xef,0xcd,0xab,0x10]

v_cmpx_eq_u64 0x10abcdef12345678, v[254:255]
// GFX13: v_cmpx_eq_u64_e32 0x10abcdef12345678, v[254:255] ; encoding: [0xfe,0xfc,0xb5,0x7d,0x78,0x56,0x34,0x12,0xef,0xcd,0xab,0x10]

v_cmpx_ge_f64 0x10abcdef12345678, v[254:255]
// GFX13: v_cmpx_ge_f64_e32 0x10abcdef12345678, v[254:255] ; encoding: [0xfe,0xfc,0x4d,0x7d,0x78,0x56,0x34,0x12,0xef,0xcd,0xab,0x10]

v_cmpx_ge_i64 0x10abcdef12345678, v[254:255]
// GFX13: v_cmpx_ge_i64_e32 0x10abcdef12345678, v[254:255] ; encoding: [0xfe,0xfc,0xad,0x7d,0x78,0x56,0x34,0x12,0xef,0xcd,0xab,0x10]

v_cmpx_ge_u64 0x10abcdef12345678, v[254:255]
// GFX13: v_cmpx_ge_u64_e32 0x10abcdef12345678, v[254:255] ; encoding: [0xfe,0xfc,0xbd,0x7d,0x78,0x56,0x34,0x12,0xef,0xcd,0xab,0x10]

v_cmpx_gt_f64 0x10abcdef12345678, v[254:255]
// GFX13: v_cmpx_gt_f64_e32 0x10abcdef12345678, v[254:255] ; encoding: [0xfe,0xfc,0x49,0x7d,0x78,0x56,0x34,0x12,0xef,0xcd,0xab,0x10]

v_cmpx_gt_i64 0x10abcdef12345678, v[254:255]
// GFX13: v_cmpx_gt_i64_e32 0x10abcdef12345678, v[254:255] ; encoding: [0xfe,0xfc,0xa9,0x7d,0x78,0x56,0x34,0x12,0xef,0xcd,0xab,0x10]

v_cmpx_gt_u64 0x10abcdef12345678, v[254:255]
// GFX13: v_cmpx_gt_u64_e32 0x10abcdef12345678, v[254:255] ; encoding: [0xfe,0xfc,0xb9,0x7d,0x78,0x56,0x34,0x12,0xef,0xcd,0xab,0x10]

v_cmpx_le_f64 0x10abcdef12345678, v[254:255]
// GFX13: v_cmpx_le_f64_e32 0x10abcdef12345678, v[254:255] ; encoding: [0xfe,0xfc,0x47,0x7d,0x78,0x56,0x34,0x12,0xef,0xcd,0xab,0x10]

v_cmpx_le_i64 0x10abcdef12345678, v[254:255]
// GFX13: v_cmpx_le_i64_e32 0x10abcdef12345678, v[254:255] ; encoding: [0xfe,0xfc,0xa7,0x7d,0x78,0x56,0x34,0x12,0xef,0xcd,0xab,0x10]

v_cmpx_le_u64 0x10abcdef12345678, v[254:255]
// GFX13: v_cmpx_le_u64_e32 0x10abcdef12345678, v[254:255] ; encoding: [0xfe,0xfc,0xb7,0x7d,0x78,0x56,0x34,0x12,0xef,0xcd,0xab,0x10]

v_cmpx_lg_f64 0x10abcdef12345678, v[254:255]
// GFX13: v_cmpx_lg_f64_e32 0x10abcdef12345678, v[254:255] ; encoding: [0xfe,0xfc,0x4b,0x7d,0x78,0x56,0x34,0x12,0xef,0xcd,0xab,0x10]

v_cmpx_lt_f64 0x10abcdef12345678, v[254:255]
// GFX13: v_cmpx_lt_f64_e32 0x10abcdef12345678, v[254:255] ; encoding: [0xfe,0xfc,0x43,0x7d,0x78,0x56,0x34,0x12,0xef,0xcd,0xab,0x10]

v_cmpx_lt_i64 0x10abcdef12345678, v[254:255]
// GFX13: v_cmpx_lt_i64_e32 0x10abcdef12345678, v[254:255] ; encoding: [0xfe,0xfc,0xa3,0x7d,0x78,0x56,0x34,0x12,0xef,0xcd,0xab,0x10]

v_cmpx_lt_u64 0x10abcdef12345678, v[254:255]
// GFX13: v_cmpx_lt_u64_e32 0x10abcdef12345678, v[254:255] ; encoding: [0xfe,0xfc,0xb3,0x7d,0x78,0x56,0x34,0x12,0xef,0xcd,0xab,0x10]

v_cmpx_ne_i64 0x10abcdef12345678, v[254:255]
// GFX13: v_cmpx_ne_i64_e32 0x10abcdef12345678, v[254:255] ; encoding: [0xfe,0xfc,0xab,0x7d,0x78,0x56,0x34,0x12,0xef,0xcd,0xab,0x10]

v_cmpx_ne_u64 0x10abcdef12345678, v[254:255]
// GFX13: v_cmpx_ne_u64_e32 0x10abcdef12345678, v[254:255] ; encoding: [0xfe,0xfc,0xbb,0x7d,0x78,0x56,0x34,0x12,0xef,0xcd,0xab,0x10]

v_cmpx_neq_f64 0x10abcdef12345678, v[254:255]
// GFX13: v_cmpx_neq_f64_e32 0x10abcdef12345678, v[254:255] ; encoding: [0xfe,0xfc,0x5b,0x7d,0x78,0x56,0x34,0x12,0xef,0xcd,0xab,0x10]

v_cmpx_nge_f64 0x10abcdef12345678, v[254:255]
// GFX13: v_cmpx_nge_f64_e32 0x10abcdef12345678, v[254:255] ; encoding: [0xfe,0xfc,0x53,0x7d,0x78,0x56,0x34,0x12,0xef,0xcd,0xab,0x10]

v_cmpx_ngt_f64 0x10abcdef12345678, v[254:255]
// GFX13: v_cmpx_ngt_f64_e32 0x10abcdef12345678, v[254:255] ; encoding: [0xfe,0xfc,0x57,0x7d,0x78,0x56,0x34,0x12,0xef,0xcd,0xab,0x10]

v_cmpx_nle_f64 0x10abcdef12345678, v[254:255]
// GFX13: v_cmpx_nle_f64_e32 0x10abcdef12345678, v[254:255] ; encoding: [0xfe,0xfc,0x59,0x7d,0x78,0x56,0x34,0x12,0xef,0xcd,0xab,0x10]

v_cmpx_nlg_f64 0x10abcdef12345678, v[254:255]
// GFX13: v_cmpx_nlg_f64_e32 0x10abcdef12345678, v[254:255] ; encoding: [0xfe,0xfc,0x55,0x7d,0x78,0x56,0x34,0x12,0xef,0xcd,0xab,0x10]

v_cmpx_nlt_f64 0x10abcdef12345678, v[254:255]
// GFX13: v_cmpx_nlt_f64_e32 0x10abcdef12345678, v[254:255] ; encoding: [0xfe,0xfc,0x5d,0x7d,0x78,0x56,0x34,0x12,0xef,0xcd,0xab,0x10]

v_cmpx_o_f64 0x10abcdef12345678, v[254:255]
// GFX13: v_cmpx_o_f64_e32 0x10abcdef12345678, v[254:255] ; encoding: [0xfe,0xfc,0x4f,0x7d,0x78,0x56,0x34,0x12,0xef,0xcd,0xab,0x10]

v_cmpx_u_f64 0x10abcdef12345678, v[254:255]
// GFX13: v_cmpx_u_f64_e32 0x10abcdef12345678, v[254:255] ; encoding: [0xfe,0xfc,0x51,0x7d,0x78,0x56,0x34,0x12,0xef,0xcd,0xab,0x10]

v_ceil_f64 v[254:255], 153.1
// GFX13: v_ceil_f64_e32 v[254:255], 0x4063233333333333 ; encoding: [0xfe,0x30,0xfc,0x7f,0x33,0x33,0x33,0x33,0x33,0x23,0x63,0x40]

v_ceil_f64 v[254:255], 1.5e22
// GFX13: v_ceil_f64_e32 v[254:255], 0x448969368974c05b ; encoding: [0xfe,0x30,0xfc,0x7f,0x5b,0xc0,0x74,0x89,0x36,0x69,0x89,0x44]

// These 64-bit literals can be represented as 32-bit with encoding 255. HW behavior:
// 64 bit float: the lower 32-bit are padded with zero
// 64-bit unsigned integer: zero extended to 64 bits
// 64-bit signed integer: sign extended to 64 bits

v_ceil_f64 v[254:255], 153.0
// GFX13: v_ceil_f64_e32 v[254:255], 0x40632000   ; encoding: [0xff,0x30,0xfc,0x7f,0x00,0x20,0x63,0x40]

v_ceil_f64 v[254:255], 0x40632000
// GFX13: v_ceil_f64_e32 v[254:255], 0x40632000   ; encoding: [0xff,0x30,0xfc,0x7f,0x00,0x20,0x63,0x40]

v_ceil_f64 v[254:255], 0x4063200000000000
// GFX13: v_ceil_f64_e32 v[254:255], 0x40632000   ; encoding: [0xff,0x30,0xfc,0x7f,0x00,0x20,0x63,0x40]

// Check inlineble literals:

// 1.0 / (2.0 * pi)
v_ceil_f64 v[254:255], 0x3fc45f306dc9c882
// GFX13: v_ceil_f64_e32 v[254:255], 0.15915494309189532 ; encoding: [0xf8,0x30,0xfc,0x7f]

v_ceil_f64 v[254:255], 0.15915494309189532
// GFX13: v_ceil_f64_e32 v[254:255], 0.15915494309189532 ; encoding: [0xf8,0x30,0xfc,0x7f]

v_ceil_f64 v[254:255], -4.0
// GFX13: v_ceil_f64_e32 v[254:255], -4.0         ; encoding: [0xf7,0x30,0xfc,0x7f]

v_ceil_f64 v[254:255], 2.0
// GFX13: v_ceil_f64_e32 v[254:255], 2.0          ; encoding: [0xf4,0x30,0xfc,0x7f]

v_ceil_f64 v[254:255], 0.0
// GFX13: v_ceil_f64_e32 v[254:255], 0            ; encoding: [0x80,0x30,0xfc,0x7f]

v_ceil_f64 v[254:255], 0x0
// GFX13: v_ceil_f64_e32 v[254:255], 0            ; encoding: [0x80,0x30,0xfc,0x7f]

// Enforce 64-bit literal even if it fits in low 32 bits (a very small double number).
// Given the backward compatibility with the syntax allowing short hex strings representing
// high 32 bits only this is the only way to encode a small number as a hex.
// Make sure lit64() is used on printing to disambiguate short hex string.

v_ceil_f64 v[254:255], lit64(0x7b)
// GFX13: v_ceil_f64_e32 v[254:255], lit64(0x7b)  ; encoding: [0xfe,0x30,0xfc,0x7f,0x7b,0x00,0x00,0x00,0x00,0x00,0x00,0x00]

v_ceil_f64 v[254:255], lit64(123)
// GFX13: v_ceil_f64_e32 v[254:255], lit64(0x7b)  ; encoding: [0xfe,0x30,0xfc,0x7f,0x7b,0x00,0x00,0x00,0x00,0x00,0x00,0x00]

v_ceil_f64 v[254:255], 2.1e-320
// GFX13: v_ceil_f64_e32 v[254:255], lit64(0x109a) ; encoding: [0xfe,0x30,0xfc,0x7f,0x9a,0x10,0x00,0x00,0x00,0x00,0x00,0x00]
